;; amdgpu-corpus repo=ROCm/rocFFT kind=compiled arch=gfx1201 opt=O3
	.text
	.amdgcn_target "amdgcn-amd-amdhsa--gfx1201"
	.amdhsa_code_object_version 6
	.protected	fft_rtc_fwd_len780_factors_2_3_13_5_2_wgs_234_tpt_78_halfLds_half_ip_CI_unitstride_sbrr_R2C_dirReg ; -- Begin function fft_rtc_fwd_len780_factors_2_3_13_5_2_wgs_234_tpt_78_halfLds_half_ip_CI_unitstride_sbrr_R2C_dirReg
	.globl	fft_rtc_fwd_len780_factors_2_3_13_5_2_wgs_234_tpt_78_halfLds_half_ip_CI_unitstride_sbrr_R2C_dirReg
	.p2align	8
	.type	fft_rtc_fwd_len780_factors_2_3_13_5_2_wgs_234_tpt_78_halfLds_half_ip_CI_unitstride_sbrr_R2C_dirReg,@function
fft_rtc_fwd_len780_factors_2_3_13_5_2_wgs_234_tpt_78_halfLds_half_ip_CI_unitstride_sbrr_R2C_dirReg: ; @fft_rtc_fwd_len780_factors_2_3_13_5_2_wgs_234_tpt_78_halfLds_half_ip_CI_unitstride_sbrr_R2C_dirReg
; %bb.0:
	s_load_b128 s[4:7], s[0:1], 0x0
	v_mul_u32_u24_e32 v1, 0x349, v0
	s_clause 0x1
	s_load_b64 s[8:9], s[0:1], 0x50
	s_load_b64 s[10:11], s[0:1], 0x18
	v_mov_b32_e32 v5, 0
	v_lshrrev_b32_e32 v1, 16, v1
	s_delay_alu instid0(VALU_DEP_1) | instskip(SKIP_3) | instid1(VALU_DEP_1)
	v_mad_co_u64_u32 v[1:2], null, ttmp9, 3, v[1:2]
	v_mov_b32_e32 v3, 0
	v_mov_b32_e32 v4, 0
	;; [unrolled: 1-line block ×4, first 2 shown]
	s_wait_kmcnt 0x0
	v_cmp_lt_u64_e64 s2, s[6:7], 2
	v_mov_b32_e32 v11, v1
	s_delay_alu instid0(VALU_DEP_2)
	s_and_b32 vcc_lo, exec_lo, s2
	s_cbranch_vccnz .LBB0_8
; %bb.1:
	s_load_b64 s[2:3], s[0:1], 0x10
	v_dual_mov_b32 v3, 0 :: v_dual_mov_b32 v8, v2
	v_dual_mov_b32 v4, 0 :: v_dual_mov_b32 v7, v1
	s_add_nc_u64 s[12:13], s[10:11], 8
	s_mov_b64 s[14:15], 1
	s_wait_kmcnt 0x0
	s_add_nc_u64 s[16:17], s[2:3], 8
	s_mov_b32 s3, 0
.LBB0_2:                                ; =>This Inner Loop Header: Depth=1
	s_load_b64 s[18:19], s[16:17], 0x0
                                        ; implicit-def: $vgpr11_vgpr12
	s_mov_b32 s2, exec_lo
	s_wait_kmcnt 0x0
	v_or_b32_e32 v6, s19, v8
	s_delay_alu instid0(VALU_DEP_1)
	v_cmpx_ne_u64_e32 0, v[5:6]
	s_wait_alu 0xfffe
	s_xor_b32 s20, exec_lo, s2
	s_cbranch_execz .LBB0_4
; %bb.3:                                ;   in Loop: Header=BB0_2 Depth=1
	s_cvt_f32_u32 s2, s18
	s_cvt_f32_u32 s21, s19
	s_sub_nc_u64 s[24:25], 0, s[18:19]
	s_wait_alu 0xfffe
	s_delay_alu instid0(SALU_CYCLE_1) | instskip(SKIP_1) | instid1(SALU_CYCLE_2)
	s_fmamk_f32 s2, s21, 0x4f800000, s2
	s_wait_alu 0xfffe
	v_s_rcp_f32 s2, s2
	s_delay_alu instid0(TRANS32_DEP_1) | instskip(SKIP_1) | instid1(SALU_CYCLE_2)
	s_mul_f32 s2, s2, 0x5f7ffffc
	s_wait_alu 0xfffe
	s_mul_f32 s21, s2, 0x2f800000
	s_wait_alu 0xfffe
	s_delay_alu instid0(SALU_CYCLE_2) | instskip(SKIP_1) | instid1(SALU_CYCLE_2)
	s_trunc_f32 s21, s21
	s_wait_alu 0xfffe
	s_fmamk_f32 s2, s21, 0xcf800000, s2
	s_cvt_u32_f32 s23, s21
	s_wait_alu 0xfffe
	s_delay_alu instid0(SALU_CYCLE_1) | instskip(SKIP_1) | instid1(SALU_CYCLE_2)
	s_cvt_u32_f32 s22, s2
	s_wait_alu 0xfffe
	s_mul_u64 s[26:27], s[24:25], s[22:23]
	s_wait_alu 0xfffe
	s_mul_hi_u32 s29, s22, s27
	s_mul_i32 s28, s22, s27
	s_mul_hi_u32 s2, s22, s26
	s_mul_i32 s30, s23, s26
	s_wait_alu 0xfffe
	s_add_nc_u64 s[28:29], s[2:3], s[28:29]
	s_mul_hi_u32 s21, s23, s26
	s_mul_hi_u32 s31, s23, s27
	s_add_co_u32 s2, s28, s30
	s_wait_alu 0xfffe
	s_add_co_ci_u32 s2, s29, s21
	s_mul_i32 s26, s23, s27
	s_add_co_ci_u32 s27, s31, 0
	s_wait_alu 0xfffe
	s_add_nc_u64 s[26:27], s[2:3], s[26:27]
	s_wait_alu 0xfffe
	v_add_co_u32 v2, s2, s22, s26
	s_delay_alu instid0(VALU_DEP_1) | instskip(SKIP_1) | instid1(VALU_DEP_1)
	s_cmp_lg_u32 s2, 0
	s_add_co_ci_u32 s23, s23, s27
	v_readfirstlane_b32 s22, v2
	s_wait_alu 0xfffe
	s_delay_alu instid0(VALU_DEP_1)
	s_mul_u64 s[24:25], s[24:25], s[22:23]
	s_wait_alu 0xfffe
	s_mul_hi_u32 s27, s22, s25
	s_mul_i32 s26, s22, s25
	s_mul_hi_u32 s2, s22, s24
	s_mul_i32 s28, s23, s24
	s_wait_alu 0xfffe
	s_add_nc_u64 s[26:27], s[2:3], s[26:27]
	s_mul_hi_u32 s21, s23, s24
	s_mul_hi_u32 s22, s23, s25
	s_wait_alu 0xfffe
	s_add_co_u32 s2, s26, s28
	s_add_co_ci_u32 s2, s27, s21
	s_mul_i32 s24, s23, s25
	s_add_co_ci_u32 s25, s22, 0
	s_wait_alu 0xfffe
	s_add_nc_u64 s[24:25], s[2:3], s[24:25]
	s_wait_alu 0xfffe
	v_add_co_u32 v2, s2, v2, s24
	s_delay_alu instid0(VALU_DEP_1) | instskip(SKIP_1) | instid1(VALU_DEP_1)
	s_cmp_lg_u32 s2, 0
	s_add_co_ci_u32 s2, s23, s25
	v_mul_hi_u32 v6, v7, v2
	s_wait_alu 0xfffe
	v_mad_co_u64_u32 v[9:10], null, v7, s2, 0
	v_mad_co_u64_u32 v[11:12], null, v8, v2, 0
	;; [unrolled: 1-line block ×3, first 2 shown]
	s_delay_alu instid0(VALU_DEP_3) | instskip(SKIP_1) | instid1(VALU_DEP_4)
	v_add_co_u32 v2, vcc_lo, v6, v9
	s_wait_alu 0xfffd
	v_add_co_ci_u32_e32 v6, vcc_lo, 0, v10, vcc_lo
	s_delay_alu instid0(VALU_DEP_2) | instskip(SKIP_1) | instid1(VALU_DEP_2)
	v_add_co_u32 v2, vcc_lo, v2, v11
	s_wait_alu 0xfffd
	v_add_co_ci_u32_e32 v2, vcc_lo, v6, v12, vcc_lo
	s_wait_alu 0xfffd
	v_add_co_ci_u32_e32 v6, vcc_lo, 0, v14, vcc_lo
	s_delay_alu instid0(VALU_DEP_2) | instskip(SKIP_1) | instid1(VALU_DEP_2)
	v_add_co_u32 v2, vcc_lo, v2, v13
	s_wait_alu 0xfffd
	v_add_co_ci_u32_e32 v6, vcc_lo, 0, v6, vcc_lo
	s_delay_alu instid0(VALU_DEP_2) | instskip(SKIP_1) | instid1(VALU_DEP_3)
	v_mul_lo_u32 v11, s19, v2
	v_mad_co_u64_u32 v[9:10], null, s18, v2, 0
	v_mul_lo_u32 v12, s18, v6
	s_delay_alu instid0(VALU_DEP_2) | instskip(NEXT) | instid1(VALU_DEP_2)
	v_sub_co_u32 v9, vcc_lo, v7, v9
	v_add3_u32 v10, v10, v12, v11
	s_delay_alu instid0(VALU_DEP_1) | instskip(SKIP_1) | instid1(VALU_DEP_1)
	v_sub_nc_u32_e32 v11, v8, v10
	s_wait_alu 0xfffd
	v_subrev_co_ci_u32_e64 v11, s2, s19, v11, vcc_lo
	v_add_co_u32 v12, s2, v2, 2
	s_wait_alu 0xf1ff
	v_add_co_ci_u32_e64 v13, s2, 0, v6, s2
	v_sub_co_u32 v14, s2, v9, s18
	v_sub_co_ci_u32_e32 v10, vcc_lo, v8, v10, vcc_lo
	s_wait_alu 0xf1ff
	v_subrev_co_ci_u32_e64 v11, s2, 0, v11, s2
	s_delay_alu instid0(VALU_DEP_3) | instskip(NEXT) | instid1(VALU_DEP_3)
	v_cmp_le_u32_e32 vcc_lo, s18, v14
	v_cmp_eq_u32_e64 s2, s19, v10
	s_wait_alu 0xfffd
	v_cndmask_b32_e64 v14, 0, -1, vcc_lo
	v_cmp_le_u32_e32 vcc_lo, s19, v11
	s_wait_alu 0xfffd
	v_cndmask_b32_e64 v15, 0, -1, vcc_lo
	v_cmp_le_u32_e32 vcc_lo, s18, v9
	;; [unrolled: 3-line block ×3, first 2 shown]
	s_wait_alu 0xfffd
	v_cndmask_b32_e64 v16, 0, -1, vcc_lo
	v_cmp_eq_u32_e32 vcc_lo, s19, v11
	s_wait_alu 0xf1ff
	s_delay_alu instid0(VALU_DEP_2)
	v_cndmask_b32_e64 v9, v16, v9, s2
	s_wait_alu 0xfffd
	v_cndmask_b32_e32 v11, v15, v14, vcc_lo
	v_add_co_u32 v14, vcc_lo, v2, 1
	s_wait_alu 0xfffd
	v_add_co_ci_u32_e32 v15, vcc_lo, 0, v6, vcc_lo
	s_delay_alu instid0(VALU_DEP_3) | instskip(SKIP_1) | instid1(VALU_DEP_2)
	v_cmp_ne_u32_e32 vcc_lo, 0, v11
	s_wait_alu 0xfffd
	v_dual_cndmask_b32 v10, v15, v13 :: v_dual_cndmask_b32 v11, v14, v12
	v_cmp_ne_u32_e32 vcc_lo, 0, v9
	s_wait_alu 0xfffd
	s_delay_alu instid0(VALU_DEP_2) | instskip(NEXT) | instid1(VALU_DEP_3)
	v_cndmask_b32_e32 v12, v6, v10, vcc_lo
	v_cndmask_b32_e32 v11, v2, v11, vcc_lo
.LBB0_4:                                ;   in Loop: Header=BB0_2 Depth=1
	s_wait_alu 0xfffe
	s_and_not1_saveexec_b32 s2, s20
	s_cbranch_execz .LBB0_6
; %bb.5:                                ;   in Loop: Header=BB0_2 Depth=1
	v_cvt_f32_u32_e32 v2, s18
	s_sub_co_i32 s20, 0, s18
	v_mov_b32_e32 v12, v5
	s_delay_alu instid0(VALU_DEP_2) | instskip(NEXT) | instid1(TRANS32_DEP_1)
	v_rcp_iflag_f32_e32 v2, v2
	v_mul_f32_e32 v2, 0x4f7ffffe, v2
	s_delay_alu instid0(VALU_DEP_1) | instskip(SKIP_1) | instid1(VALU_DEP_1)
	v_cvt_u32_f32_e32 v2, v2
	s_wait_alu 0xfffe
	v_mul_lo_u32 v6, s20, v2
	s_delay_alu instid0(VALU_DEP_1) | instskip(NEXT) | instid1(VALU_DEP_1)
	v_mul_hi_u32 v6, v2, v6
	v_add_nc_u32_e32 v2, v2, v6
	s_delay_alu instid0(VALU_DEP_1) | instskip(NEXT) | instid1(VALU_DEP_1)
	v_mul_hi_u32 v2, v7, v2
	v_mul_lo_u32 v6, v2, s18
	v_add_nc_u32_e32 v9, 1, v2
	s_delay_alu instid0(VALU_DEP_2) | instskip(NEXT) | instid1(VALU_DEP_1)
	v_sub_nc_u32_e32 v6, v7, v6
	v_subrev_nc_u32_e32 v10, s18, v6
	v_cmp_le_u32_e32 vcc_lo, s18, v6
	s_wait_alu 0xfffd
	s_delay_alu instid0(VALU_DEP_2) | instskip(SKIP_1) | instid1(VALU_DEP_2)
	v_cndmask_b32_e32 v6, v6, v10, vcc_lo
	v_cndmask_b32_e32 v2, v2, v9, vcc_lo
	v_cmp_le_u32_e32 vcc_lo, s18, v6
	s_delay_alu instid0(VALU_DEP_2) | instskip(SKIP_1) | instid1(VALU_DEP_1)
	v_add_nc_u32_e32 v9, 1, v2
	s_wait_alu 0xfffd
	v_cndmask_b32_e32 v11, v2, v9, vcc_lo
.LBB0_6:                                ;   in Loop: Header=BB0_2 Depth=1
	s_wait_alu 0xfffe
	s_or_b32 exec_lo, exec_lo, s2
	s_load_b64 s[20:21], s[12:13], 0x0
	v_mul_lo_u32 v2, v12, s18
	v_mul_lo_u32 v6, v11, s19
	v_mad_co_u64_u32 v[9:10], null, v11, s18, 0
	s_add_nc_u64 s[14:15], s[14:15], 1
	s_add_nc_u64 s[12:13], s[12:13], 8
	s_wait_alu 0xfffe
	v_cmp_ge_u64_e64 s2, s[14:15], s[6:7]
	s_add_nc_u64 s[16:17], s[16:17], 8
	s_delay_alu instid0(VALU_DEP_2) | instskip(NEXT) | instid1(VALU_DEP_3)
	v_add3_u32 v2, v10, v6, v2
	v_sub_co_u32 v6, vcc_lo, v7, v9
	s_wait_alu 0xfffd
	s_delay_alu instid0(VALU_DEP_2) | instskip(SKIP_3) | instid1(VALU_DEP_2)
	v_sub_co_ci_u32_e32 v2, vcc_lo, v8, v2, vcc_lo
	s_and_b32 vcc_lo, exec_lo, s2
	s_wait_kmcnt 0x0
	v_mul_lo_u32 v7, s21, v6
	v_mul_lo_u32 v2, s20, v2
	v_mad_co_u64_u32 v[3:4], null, s20, v6, v[3:4]
	s_delay_alu instid0(VALU_DEP_1)
	v_add3_u32 v4, v7, v4, v2
	s_wait_alu 0xfffe
	s_cbranch_vccnz .LBB0_8
; %bb.7:                                ;   in Loop: Header=BB0_2 Depth=1
	v_dual_mov_b32 v7, v11 :: v_dual_mov_b32 v8, v12
	s_branch .LBB0_2
.LBB0_8:
	s_lshl_b64 s[2:3], s[6:7], 3
	v_mul_hi_u32 v2, 0xaaaaaaab, v1
	s_wait_alu 0xfffe
	s_add_nc_u64 s[2:3], s[10:11], s[2:3]
	v_mul_hi_u32 v5, 0x3483484, v0
	s_load_b64 s[2:3], s[2:3], 0x0
	s_load_b64 s[0:1], s[0:1], 0x20
	s_delay_alu instid0(VALU_DEP_2) | instskip(NEXT) | instid1(VALU_DEP_2)
	v_lshrrev_b32_e32 v2, 1, v2
	v_mul_u32_u24_e32 v5, 0x4e, v5
	s_delay_alu instid0(VALU_DEP_2) | instskip(NEXT) | instid1(VALU_DEP_2)
	v_lshl_add_u32 v6, v2, 1, v2
	v_sub_nc_u32_e32 v0, v0, v5
	s_delay_alu instid0(VALU_DEP_2) | instskip(NEXT) | instid1(VALU_DEP_2)
	v_sub_nc_u32_e32 v1, v1, v6
	v_add_nc_u32_e32 v10, 0x4e, v0
	v_add_nc_u32_e32 v8, 0x9c, v0
	;; [unrolled: 1-line block ×3, first 2 shown]
	s_wait_kmcnt 0x0
	v_mul_lo_u32 v5, s2, v12
	v_mul_lo_u32 v7, s3, v11
	v_mad_co_u64_u32 v[2:3], null, s2, v11, v[3:4]
	v_cmp_gt_u64_e32 vcc_lo, s[0:1], v[11:12]
	v_cmp_le_u64_e64 s0, s[0:1], v[11:12]
	v_add_nc_u32_e32 v4, 0x138, v0
	s_delay_alu instid0(VALU_DEP_4) | instskip(NEXT) | instid1(VALU_DEP_3)
	v_add3_u32 v3, v7, v3, v5
	s_and_saveexec_b32 s1, s0
	s_wait_alu 0xfffe
	s_xor_b32 s0, exec_lo, s1
; %bb.9:
	v_add_nc_u32_e32 v10, 0x4e, v0
	v_add_nc_u32_e32 v8, 0x9c, v0
	;; [unrolled: 1-line block ×4, first 2 shown]
; %bb.10:
	s_wait_alu 0xfffe
	s_or_saveexec_b32 s1, s0
	v_mul_u32_u24_e32 v24, 0x30d, v1
	v_lshlrev_b64_e32 v[2:3], 2, v[2:3]
	v_lshlrev_b32_e32 v12, 2, v0
	s_delay_alu instid0(VALU_DEP_3)
	v_lshlrev_b32_e32 v5, 2, v24
	s_wait_alu 0xfffe
	s_xor_b32 exec_lo, exec_lo, s1
	s_cbranch_execz .LBB0_12
; %bb.11:
	v_mov_b32_e32 v1, 0
	s_delay_alu instid0(VALU_DEP_1) | instskip(SKIP_3) | instid1(VALU_DEP_2)
	v_lshlrev_b64_e32 v[13:14], 2, v[0:1]
	v_add_co_u32 v1, s0, s8, v2
	s_wait_alu 0xf1ff
	v_add_co_ci_u32_e64 v7, s0, s9, v3, s0
	v_add_co_u32 v13, s0, v1, v13
	s_wait_alu 0xf1ff
	s_delay_alu instid0(VALU_DEP_2)
	v_add_co_ci_u32_e64 v14, s0, v7, v14, s0
	s_clause 0x9
	global_load_b32 v1, v[13:14], off
	global_load_b32 v7, v[13:14], off offset:312
	global_load_b32 v9, v[13:14], off offset:624
	;; [unrolled: 1-line block ×9, first 2 shown]
	v_add3_u32 v14, 0, v5, v12
	s_delay_alu instid0(VALU_DEP_1)
	v_add_nc_u32_e32 v20, 0x400, v14
	v_add_nc_u32_e32 v21, 0x600, v14
	;; [unrolled: 1-line block ×3, first 2 shown]
	s_wait_loadcnt 0x8
	ds_store_2addr_b32 v14, v1, v7 offset1:78
	s_wait_loadcnt 0x6
	ds_store_2addr_b32 v14, v9, v11 offset0:156 offset1:234
	s_wait_loadcnt 0x4
	ds_store_2addr_b32 v20, v15, v16 offset0:56 offset1:134
	;; [unrolled: 2-line block ×4, first 2 shown]
.LBB0_12:
	s_or_b32 exec_lo, exec_lo, s1
	v_add3_u32 v27, 0, v12, v5
	v_add_nc_u32_e32 v26, 0, v5
	global_wb scope:SCOPE_SE
	s_wait_dscnt 0x0
	s_barrier_signal -1
	s_barrier_wait -1
	v_add_nc_u32_e32 v1, 0x400, v27
	v_add_nc_u32_e32 v25, v26, v12
	;; [unrolled: 1-line block ×4, first 2 shown]
	global_inv scope:SCOPE_SE
	ds_load_2addr_b32 v[13:14], v1 offset0:134 offset1:212
	ds_load_b32 v21, v25
	ds_load_2addr_b32 v[15:16], v27 offset0:78 offset1:156
	ds_load_2addr_b32 v[17:18], v7 offset0:34 offset1:112
	;; [unrolled: 1-line block ×3, first 2 shown]
	ds_load_b32 v9, v27 offset:2808
	v_lshl_add_u32 v30, v6, 3, 0
	v_add_nc_u32_e32 v22, v27, v12
	v_lshl_add_u32 v28, v10, 3, v26
	v_lshl_add_u32 v31, v8, 3, v26
	;; [unrolled: 1-line block ×3, first 2 shown]
	v_add_nc_u32_e32 v23, v30, v5
	global_wb scope:SCOPE_SE
	s_wait_dscnt 0x0
	s_barrier_signal -1
	s_barrier_wait -1
	global_inv scope:SCOPE_SE
	v_cmp_gt_u32_e64 s0, 26, v0
	v_pk_add_f16 v13, v21, v13 neg_lo:[0,1] neg_hi:[0,1]
	v_pk_add_f16 v14, v15, v14 neg_lo:[0,1] neg_hi:[0,1]
	;; [unrolled: 1-line block ×5, first 2 shown]
	v_pk_fma_f16 v9, v21, 2.0, v13 op_sel_hi:[1,0,1] neg_lo:[0,0,1] neg_hi:[0,0,1]
	v_pk_fma_f16 v15, v15, 2.0, v14 op_sel_hi:[1,0,1] neg_lo:[0,0,1] neg_hi:[0,0,1]
	;; [unrolled: 1-line block ×5, first 2 shown]
	ds_store_2addr_b32 v22, v9, v13 offset1:1
	ds_store_2addr_b32 v28, v15, v14 offset1:1
	;; [unrolled: 1-line block ×5, first 2 shown]
	v_lshlrev_b32_e32 v9, 2, v10
	v_lshlrev_b32_e32 v13, 2, v8
	v_add_nc_u32_e32 v14, 0x600, v27
	global_wb scope:SCOPE_SE
	s_wait_dscnt 0x0
	s_barrier_signal -1
	v_sub_nc_u32_e32 v29, v28, v9
	v_sub_nc_u32_e32 v28, v31, v13
	s_barrier_wait -1
	global_inv scope:SCOPE_SE
	ds_load_2addr_b32 v[22:23], v1 offset0:4 offset1:82
	ds_load_2addr_b32 v[20:21], v14 offset0:32 offset1:136
	;; [unrolled: 1-line block ×3, first 2 shown]
	ds_load_b32 v16, v25
	ds_load_b32 v17, v29
	;; [unrolled: 1-line block ×3, first 2 shown]
	v_lshlrev_b32_e32 v1, 2, v6
                                        ; implicit-def: $vgpr13
                                        ; implicit-def: $vgpr7
                                        ; implicit-def: $vgpr15
                                        ; implicit-def: $vgpr9
	s_and_saveexec_b32 s1, s0
	s_cbranch_execz .LBB0_14
; %bb.13:
	s_delay_alu instid0(VALU_DEP_1) | instskip(NEXT) | instid1(VALU_DEP_1)
	v_sub_nc_u32_e32 v7, v30, v1
	v_lshl_add_u32 v11, v24, 2, v7
	ds_load_b32 v9, v27 offset:1976
	ds_load_b32 v7, v27 offset:3016
	ds_load_b32 v11, v11
	s_wait_dscnt 0x2
	v_lshrrev_b32_e32 v15, 16, v9
	s_wait_dscnt 0x1
	v_lshrrev_b32_e32 v13, 16, v7
.LBB0_14:
	s_wait_alu 0xfffe
	s_or_b32 exec_lo, exec_lo, s1
	v_and_b32_e32 v24, 1, v0
	v_lshrrev_b32_e32 v36, 1, v10
	s_wait_dscnt 0x5
	v_lshrrev_b32_e32 v32, 16, v22
	s_wait_dscnt 0x4
	v_lshrrev_b32_e32 v33, 16, v21
	v_lshrrev_b32_e32 v34, 16, v23
	v_lshlrev_b32_e32 v30, 3, v24
	v_mul_lo_u32 v36, v36, 6
	s_wait_dscnt 0x3
	v_lshrrev_b32_e32 v39, 16, v18
	v_lshrrev_b32_e32 v40, 16, v20
	;; [unrolled: 1-line block ×3, first 2 shown]
	global_load_b64 v[30:31], v30, s[4:5]
	v_lshrrev_b32_e32 v35, 1, v0
	v_lshrrev_b32_e32 v37, 1, v8
	s_wait_dscnt 0x1
	v_lshrrev_b32_e32 v42, 16, v17
	v_or_b32_e32 v36, v36, v24
	s_wait_dscnt 0x0
	v_lshrrev_b32_e32 v41, 16, v14
	v_mul_u32_u24_e32 v35, 6, v35
	v_mul_lo_u32 v43, v37, 6
	v_lshrrev_b32_e32 v37, 16, v16
	v_lshlrev_b32_e32 v36, 2, v36
	v_lshrrev_b32_e32 v38, 16, v11
	v_or_b32_e32 v35, v35, v24
	global_wb scope:SCOPE_SE
	s_wait_loadcnt 0x0
	s_barrier_signal -1
	v_add3_u32 v47, 0, v36, v5
	v_or_b32_e32 v43, v43, v24
	v_lshlrev_b32_e32 v35, 2, v35
	s_barrier_wait -1
	global_inv scope:SCOPE_SE
	v_lshlrev_b32_e32 v43, 2, v43
	v_add3_u32 v35, 0, v35, v5
	s_delay_alu instid0(VALU_DEP_2) | instskip(SKIP_2) | instid1(VALU_DEP_2)
	v_add3_u32 v43, 0, v43, v5
	v_lshrrev_b32_e32 v45, 16, v30
	v_lshrrev_b32_e32 v46, 16, v31
	v_mul_f16_e32 v36, v45, v32
	v_mul_f16_e32 v48, v45, v22
	s_delay_alu instid0(VALU_DEP_3)
	v_mul_f16_e32 v49, v46, v33
	v_mul_f16_e32 v50, v46, v21
	v_mul_f16_e32 v51, v45, v34
	v_mul_f16_e32 v52, v45, v23
	v_mul_f16_e32 v53, v46, v39
	v_mul_f16_e32 v54, v46, v18
	v_mul_f16_e32 v55, v45, v40
	v_mul_f16_e32 v56, v45, v20
	v_mul_f16_e32 v57, v46, v44
	v_mul_f16_e32 v58, v46, v19
	v_mul_f16_e32 v59, v15, v45
	v_mul_f16_e32 v45, v9, v45
	v_mul_f16_e32 v60, v13, v46
	v_mul_f16_e32 v46, v7, v46
	v_fma_f16 v22, v30, v22, -v36
	v_fmac_f16_e32 v48, v30, v32
	v_fma_f16 v21, v31, v21, -v49
	v_fmac_f16_e32 v50, v31, v33
	;; [unrolled: 2-line block ×8, first 2 shown]
	v_add_f16_e32 v13, v22, v21
	v_add_f16_e32 v31, v48, v50
	;; [unrolled: 1-line block ×7, first 2 shown]
	v_sub_f16_e32 v30, v48, v50
	v_add_f16_e32 v19, v48, v37
	v_sub_f16_e32 v22, v22, v21
	v_add_f16_e32 v33, v17, v23
	;; [unrolled: 2-line block ×6, first 2 shown]
	v_add_f16_e32 v56, v9, v15
	v_add_f16_e32 v60, v45, v46
	v_fmac_f16_e32 v16, -0.5, v13
	v_fmac_f16_e32 v37, -0.5, v31
	v_add_f16_e32 v59, v38, v45
	v_fmac_f16_e32 v17, -0.5, v34
	v_fmac_f16_e32 v42, -0.5, v44
	;; [unrolled: 1-line block ×4, first 2 shown]
	v_sub_f16_e32 v57, v45, v46
	v_sub_f16_e32 v61, v9, v15
	v_add_f16_e32 v7, v7, v21
	v_add_f16_e32 v9, v19, v50
	;; [unrolled: 1-line block ×6, first 2 shown]
	v_fma_f16 v23, -0.5, v56, v11
	v_fmac_f16_e32 v38, -0.5, v60
	v_fmamk_f16 v15, v30, 0x3aee, v16
	v_fmamk_f16 v36, v22, 0xbaee, v37
	v_fmac_f16_e32 v16, 0xbaee, v30
	v_fmac_f16_e32 v37, 0x3aee, v22
	v_add_f16_e32 v45, v59, v46
	v_fmamk_f16 v20, v40, 0x3aee, v17
	v_fmamk_f16 v46, v48, 0xbaee, v42
	v_fmac_f16_e32 v17, 0xbaee, v40
	v_fmac_f16_e32 v42, 0x3aee, v48
	v_add_f16_e32 v44, v52, v58
	v_fmamk_f16 v13, v51, 0x3aee, v14
	v_fmamk_f16 v48, v55, 0xbaee, v41
	v_fmac_f16_e32 v14, 0xbaee, v51
	v_fmac_f16_e32 v41, 0x3aee, v55
	v_fmamk_f16 v22, v57, 0x3aee, v23
	v_fmac_f16_e32 v23, 0xbaee, v57
	v_fmamk_f16 v49, v61, 0xbaee, v38
	v_fmac_f16_e32 v38, 0x3aee, v61
	v_pack_b32_f16 v11, v7, v9
	v_pack_b32_f16 v32, v15, v36
	;; [unrolled: 1-line block ×9, first 2 shown]
	ds_store_2addr_b32 v35, v11, v32 offset1:2
	ds_store_b32 v35, v33 offset:16
	ds_store_2addr_b32 v47, v30, v34 offset1:2
	ds_store_b32 v47, v40 offset:16
	;; [unrolled: 2-line block ×3, first 2 shown]
	s_and_saveexec_b32 s1, s0
	s_cbranch_execz .LBB0_16
; %bb.15:
	v_lshrrev_b32_e32 v11, 1, v6
	v_perm_b32 v30, v49, v22, 0x5040100
	v_perm_b32 v31, v38, v23, 0x5040100
	s_delay_alu instid0(VALU_DEP_3) | instskip(NEXT) | instid1(VALU_DEP_1)
	v_mul_lo_u32 v11, v11, 6
	v_or_b32_e32 v11, v11, v24
	v_perm_b32 v24, v45, v21, 0x5040100
	s_delay_alu instid0(VALU_DEP_2) | instskip(NEXT) | instid1(VALU_DEP_1)
	v_lshlrev_b32_e32 v11, 2, v11
	v_add3_u32 v11, 0, v11, v5
	ds_store_2addr_b32 v11, v24, v30 offset1:2
	ds_store_b32 v11, v31 offset:16
.LBB0_16:
	s_wait_alu 0xfffe
	s_or_b32 exec_lo, exec_lo, s1
	v_cmp_gt_u32_e64 s0, 60, v0
	global_wb scope:SCOPE_SE
	s_wait_dscnt 0x0
	s_barrier_signal -1
	s_barrier_wait -1
	global_inv scope:SCOPE_SE
                                        ; implicit-def: $vgpr50
	s_and_saveexec_b32 s1, s0
	s_cbranch_execz .LBB0_18
; %bb.17:
	v_add_nc_u32_e32 v9, 0x400, v27
	v_add_nc_u32_e32 v11, 0x800, v27
	ds_load_b32 v7, v25
	ds_load_2addr_b32 v[15:16], v27 offset0:60 offset1:120
	ds_load_2addr_b32 v[19:20], v27 offset0:180 offset1:240
	ds_load_2addr_b32 v[13:14], v9 offset0:164 offset1:224
	ds_load_2addr_b32 v[21:22], v11 offset0:28 offset1:88
	ds_load_2addr_b32 v[23:24], v11 offset0:148 offset1:208
	ds_load_2addr_b32 v[17:18], v9 offset0:44 offset1:104
	s_wait_dscnt 0x4
	v_lshrrev_b32_e32 v39, 16, v19
	v_lshrrev_b32_e32 v9, 16, v7
	;; [unrolled: 1-line block ×5, first 2 shown]
	s_wait_dscnt 0x3
	v_lshrrev_b32_e32 v41, 16, v14
	s_wait_dscnt 0x2
	v_lshrrev_b32_e32 v45, 16, v21
	v_lshrrev_b32_e32 v49, 16, v22
	s_wait_dscnt 0x1
	v_lshrrev_b32_e32 v38, 16, v23
	;; [unrolled: 3-line block ×3, first 2 shown]
	v_lshrrev_b32_e32 v44, 16, v18
	v_lshrrev_b32_e32 v48, 16, v13
.LBB0_18:
	s_wait_alu 0xfffe
	s_or_b32 exec_lo, exec_lo, s1
	global_wb scope:SCOPE_SE
	s_barrier_signal -1
	s_barrier_wait -1
	global_inv scope:SCOPE_SE
	s_and_saveexec_b32 s1, s0
	s_cbranch_execz .LBB0_20
; %bb.19:
	v_and_b32_e32 v11, 0xff, v0
	s_delay_alu instid0(VALU_DEP_1) | instskip(NEXT) | instid1(VALU_DEP_1)
	v_mul_lo_u16 v11, 0xab, v11
	v_lshrrev_b16 v30, 10, v11
	s_delay_alu instid0(VALU_DEP_1) | instskip(NEXT) | instid1(VALU_DEP_1)
	v_mul_lo_u16 v11, v30, 6
	v_sub_nc_u16 v11, v0, v11
	s_delay_alu instid0(VALU_DEP_1) | instskip(NEXT) | instid1(VALU_DEP_1)
	v_and_b32_e32 v11, 0xff, v11
	v_mul_u32_u24_e32 v31, 12, v11
	v_lshlrev_b32_e32 v11, 2, v11
	s_delay_alu instid0(VALU_DEP_2)
	v_lshlrev_b32_e32 v31, 2, v31
	s_clause 0x2
	global_load_b128 v[53:56], v31, s[4:5] offset:16
	global_load_b128 v[60:63], v31, s[4:5] offset:32
	;; [unrolled: 1-line block ×3, first 2 shown]
	s_wait_loadcnt 0x2
	v_lshrrev_b32_e32 v32, 16, v53
	v_lshrrev_b32_e32 v33, 16, v54
	s_wait_loadcnt 0x0
	v_lshrrev_b32_e32 v43, 16, v67
	v_lshrrev_b32_e32 v52, 16, v66
	v_lshrrev_b32_e32 v35, 16, v56
	v_lshrrev_b32_e32 v40, 16, v60
	v_lshrrev_b32_e32 v51, 16, v65
	v_mul_f16_e32 v31, v24, v43
	v_mul_f16_e32 v68, v15, v32
	;; [unrolled: 1-line block ×6, first 2 shown]
	v_lshrrev_b32_e32 v34, 16, v55
	v_lshrrev_b32_e32 v47, 16, v64
	v_mul_f16_e32 v72, v37, v33
	v_mul_f16_e32 v73, v38, v52
	v_mul_f16_e32 v33, v22, v51
	v_mul_f16_e32 v75, v49, v51
	v_mul_f16_e32 v51, v20, v35
	v_mul_f16_e32 v76, v46, v35
	v_mul_f16_e32 v78, v42, v40
	v_fmac_f16_e32 v31, v50, v67
	v_fmac_f16_e32 v68, v36, v53
	v_fma_f16 v53, v15, v53, -v69
	v_fma_f16 v36, v24, v67, -v70
	v_fmac_f16_e32 v32, v38, v66
	v_fmac_f16_e32 v71, v37, v54
	v_lshrrev_b32_e32 v57, 16, v61
	v_lshrrev_b32_e32 v59, 16, v63
	v_mul_f16_e32 v52, v19, v34
	v_mul_f16_e32 v74, v39, v34
	;; [unrolled: 1-line block ×5, first 2 shown]
	v_fma_f16 v72, v16, v54, -v72
	v_fma_f16 v37, v23, v66, -v73
	v_fmac_f16_e32 v33, v49, v65
	v_fma_f16 v38, v22, v65, -v75
	v_fmac_f16_e32 v51, v46, v56
	v_fma_f16 v54, v20, v56, -v76
	v_fma_f16 v50, v17, v60, -v78
	v_add_f16_e32 v23, v68, v31
	v_sub_f16_e32 v65, v53, v36
	v_add_f16_e32 v17, v71, v32
	v_add_f16_e32 v24, v53, v36
	v_sub_f16_e32 v56, v68, v31
	v_add_f16_e32 v53, v7, v53
	v_mul_f16_e32 v35, v14, v59
	v_mul_f16_e32 v79, v41, v59
	;; [unrolled: 1-line block ×4, first 2 shown]
	v_fmac_f16_e32 v52, v39, v55
	v_fma_f16 v59, v19, v55, -v74
	v_fmac_f16_e32 v34, v45, v64
	v_fma_f16 v39, v21, v64, -v77
	v_sub_f16_e32 v64, v72, v37
	v_add_f16_e32 v22, v72, v37
	v_sub_f16_e32 v73, v71, v32
	v_add_f16_e32 v55, v9, v68
	v_mul_f16_e32 v75, 0xb5ac, v23
	v_mul_f16_e32 v76, 0xb9fd, v17
	;; [unrolled: 1-line block ×7, first 2 shown]
	v_add_f16_e32 v72, v53, v72
	v_fmac_f16_e32 v35, v41, v63
	v_fma_f16 v41, v14, v63, -v79
	v_fmac_f16_e32 v43, v44, v61
	v_fma_f16 v44, v18, v61, -v57
	v_sub_f16_e32 v63, v59, v38
	v_add_f16_e32 v21, v59, v38
	v_mul_f16_e32 v79, 0x394e, v73
	v_mul_f16_e32 v89, 0xbbf1, v65
	;; [unrolled: 1-line block ×6, first 2 shown]
	v_add_f16_e32 v95, v55, v71
	v_mul_f16_e32 v55, 0xba95, v64
	v_fmamk_f16 v120, v65, 0x3b7b, v75
	v_fmamk_f16 v121, v64, 0xb94e, v76
	;; [unrolled: 1-line block ×4, first 2 shown]
	v_fmac_f16_e32 v85, 0xb3a8, v65
	v_fmac_f16_e32 v81, 0xb94e, v65
	;; [unrolled: 1-line block ×3, first 2 shown]
	v_fmamk_f16 v65, v64, 0xbbf1, v82
	v_add_f16_e32 v59, v72, v59
	v_fmamk_f16 v72, v64, 0xb770, v86
	v_fmac_f16_e32 v86, 0x3770, v64
	v_fmac_f16_e32 v82, 0x3bf1, v64
	;; [unrolled: 1-line block ×3, first 2 shown]
	v_fmamk_f16 v64, v24, 0xb5ac, v78
	v_fmac_f16_e32 v47, v42, v60
	v_sub_f16_e32 v60, v54, v39
	v_add_f16_e32 v20, v54, v39
	v_mul_f16_e32 v87, 0xb3a8, v56
	v_add_f16_e32 v54, v59, v54
	v_fmamk_f16 v59, v22, 0xb9fd, v79
	v_add_f16_e32 v64, v7, v64
	v_mul_f16_e32 v88, 0x3770, v73
	v_add_f16_e32 v122, v9, v122
	v_lshrrev_b32_e32 v58, 16, v62
	v_add_f16_e32 v16, v52, v33
	v_add_f16_e32 v59, v59, v64
	v_fmamk_f16 v64, v24, 0xbbc4, v87
	v_sub_f16_e32 v74, v52, v33
	v_mul_f16_e32 v83, 0xb94e, v56
	v_mul_f16_e32 v91, 0xbbf1, v56
	v_add_f16_e32 v52, v95, v52
	v_add_f16_e32 v65, v65, v122
	v_fmamk_f16 v122, v22, 0x3b15, v88
	v_fma_f16 v87, v24, 0xbbc4, -v87
	v_add_f16_e32 v64, v7, v64
	v_mul_f16_e32 v40, v13, v58
	v_add_f16_e32 v15, v51, v34
	v_sub_f16_e32 v67, v51, v34
	v_mul_f16_e32 v84, 0x3bf1, v73
	v_mul_f16_e32 v92, 0xb3a8, v73
	v_add_f16_e32 v120, v9, v120
	v_add_f16_e32 v51, v52, v51
	v_fmamk_f16 v52, v24, 0xb9fd, v83
	v_fma_f16 v88, v22, 0x3b15, -v88
	v_fma_f16 v78, v24, 0xb5ac, -v78
	v_add_f16_e32 v85, v9, v85
	v_add_f16_e32 v64, v122, v64
	v_fma_f16 v122, v24, 0x2fb7, -v91
	v_add_f16_e32 v87, v7, v87
	v_fmac_f16_e32 v91, 0x2fb7, v24
	v_mul_f16_e32 v58, v48, v58
	v_fmac_f16_e32 v40, v48, v62
	v_add_f16_e32 v14, v47, v35
	v_sub_f16_e32 v49, v47, v35
	v_mul_f16_e32 v80, 0x3770, v74
	v_mul_f16_e32 v61, 0xba95, v56
	;; [unrolled: 1-line block ×3, first 2 shown]
	v_add_f16_e32 v120, v121, v120
	v_fmamk_f16 v121, v22, 0x2fb7, v84
	v_fma_f16 v83, v24, 0xb9fd, -v83
	v_add_f16_e32 v52, v7, v52
	v_fma_f16 v79, v22, 0xb9fd, -v79
	v_add_f16_e32 v81, v9, v81
	v_add_f16_e32 v85, v86, v85
	v_fma_f16 v86, v22, 0xbbc4, -v92
	v_add_f16_e32 v87, v88, v87
	v_fmamk_f16 v88, v23, 0x388b, v93
	v_add_f16_e32 v78, v7, v78
	v_add_f16_e32 v122, v7, v122
	;; [unrolled: 1-line block ×3, first 2 shown]
	v_fma_f16 v93, v23, 0x388b, -v93
	v_fmac_f16_e32 v92, 0xbbc4, v22
	v_add_f16_e32 v91, v7, v91
	v_fma_f16 v42, v13, v62, -v58
	v_add_f16_e32 v13, v43, v40
	v_sub_f16_e32 v46, v43, v40
	v_mul_f16_e32 v53, 0xba95, v73
	v_mul_f16_e32 v97, 0xba95, v74
	;; [unrolled: 1-line block ×3, first 2 shown]
	v_fma_f16 v84, v22, 0x2fb7, -v84
	v_add_f16_e32 v123, v9, v123
	v_add_f16_e32 v52, v121, v52
	v_fmamk_f16 v121, v23, 0x2fb7, v89
	v_add_f16_e32 v83, v7, v83
	v_add_f16_e32 v81, v82, v81
	v_fmamk_f16 v82, v17, 0xb5ac, v94
	v_add_f16_e32 v78, v79, v78
	v_add_f16_e32 v88, v9, v88
	;; [unrolled: 1-line block ×3, first 2 shown]
	v_fma_f16 v122, v24, 0x3b15, -v56
	v_fma_f16 v94, v17, 0xb5ac, -v94
	v_add_f16_e32 v93, v9, v93
	v_add_f16_e32 v91, v92, v91
	v_fmamk_f16 v92, v21, 0x3b15, v80
	v_fma_f16 v80, v21, 0x3b15, -v80
	v_add_f16_e32 v43, v47, v43
	v_sub_f16_e32 v48, v50, v41
	v_add_f16_e32 v19, v50, v41
	v_mul_f16_e32 v77, 0x3b15, v16
	v_mul_f16_e32 v58, 0xbb7b, v73
	;; [unrolled: 1-line block ×5, first 2 shown]
	v_add_f16_e32 v72, v72, v123
	v_fmamk_f16 v123, v17, 0xbbc4, v90
	v_add_f16_e32 v75, v9, v75
	v_add_f16_e32 v83, v84, v83
	v_fma_f16 v84, v24, 0x388b, -v61
	v_add_f16_e32 v121, v9, v121
	v_add_f16_e32 v82, v82, v88
	v_fma_f16 v88, v22, 0x388b, -v53
	;; [unrolled: 3-line block ×3, first 2 shown]
	v_add_f16_e32 v93, v94, v93
	v_fmamk_f16 v94, v21, 0x388b, v97
	v_fma_f16 v97, v21, 0x388b, -v97
	v_add_f16_e32 v78, v80, v78
	v_fmamk_f16 v80, v16, 0xbbc4, v104
	v_add_f16_e32 v40, v43, v40
	v_sub_f16_e32 v45, v44, v42
	v_add_f16_e32 v18, v44, v42
	v_mul_f16_e32 v98, 0xb9fd, v16
	v_mul_f16_e32 v103, 0x3b7b, v74
	v_mul_f16_e32 v109, 0x3a95, v67
	v_mul_f16_e32 v112, 0x3770, v60
	v_fmamk_f16 v95, v63, 0xb770, v77
	v_fmac_f16_e32 v77, 0x3770, v63
	v_add_f16_e32 v75, v76, v75
	v_fma_f16 v76, v22, 0xb5ac, -v58
	v_fmamk_f16 v79, v23, 0x3b15, v57
	v_add_f16_e32 v121, v123, v121
	v_add_f16_e32 v84, v7, v84
	;; [unrolled: 1-line block ×3, first 2 shown]
	v_fma_f16 v90, v17, 0xbbc4, -v90
	v_add_f16_e32 v89, v9, v89
	v_add_f16_e32 v52, v94, v52
	v_fmamk_f16 v94, v21, 0xb9fd, v99
	v_add_f16_e32 v83, v97, v83
	v_fmamk_f16 v97, v16, 0xb5ac, v102
	v_add_f16_e32 v80, v80, v82
	v_fma_f16 v82, v21, 0x2fb7, -v71
	v_add_f16_e32 v44, v50, v44
	v_add_f16_e32 v35, v40, v35
	v_mul_f16_e32 v68, 0x2fb7, v15
	v_mul_f16_e32 v96, 0x388b, v16
	;; [unrolled: 1-line block ×7, first 2 shown]
	v_fmamk_f16 v125, v63, 0x394e, v98
	v_fmac_f16_e32 v98, 0xb94e, v63
	v_fmamk_f16 v123, v17, 0x388b, v55
	v_add_f16_e32 v79, v9, v79
	v_add_f16_e32 v76, v76, v84
	v_mul_f16_e32 v84, 0xba95, v48
	v_add_f16_e32 v89, v90, v89
	v_add_f16_e32 v64, v94, v64
	;; [unrolled: 1-line block ×3, first 2 shown]
	v_fma_f16 v77, v21, 0xb5ac, -v103
	v_add_f16_e32 v97, v97, v121
	v_fma_f16 v102, v16, 0xb5ac, -v102
	v_fmac_f16_e32 v103, 0xb5ac, v21
	v_add_f16_e32 v82, v82, v88
	v_fmamk_f16 v88, v20, 0x388b, v109
	v_fmamk_f16 v50, v15, 0x3b15, v112
	v_add_f16_e32 v42, v44, v42
	v_add_f16_e32 v34, v35, v34
	v_mul_f16_e32 v66, 0xbbc4, v14
	v_mul_f16_e32 v70, 0xbbf1, v67
	;; [unrolled: 1-line block ×8, first 2 shown]
	v_fmamk_f16 v124, v63, 0x3a95, v96
	v_fmac_f16_e32 v96, 0xba95, v63
	v_fmamk_f16 v63, v60, 0x3bf1, v68
	v_fmamk_f16 v127, v60, 0xba95, v108
	v_fmac_f16_e32 v108, 0x3a95, v60
	v_add_f16_e32 v79, v123, v79
	v_mul_f16_e32 v123, 0xb94e, v45
	v_mul_f16_e32 v122, 0xba95, v49
	v_add_f16_e32 v95, v95, v120
	v_add_f16_e32 v85, v98, v85
	v_fma_f16 v121, v21, 0xbbc4, -v105
	v_add_f16_e32 v77, v77, v86
	v_fmamk_f16 v86, v16, 0x2fb7, v106
	v_fma_f16 v47, v20, 0x3b15, -v113
	v_add_f16_e32 v89, v102, v89
	v_fmamk_f16 v102, v15, 0xb9fd, v114
	v_add_f16_e32 v91, v103, v91
	v_fma_f16 v112, v15, 0x3b15, -v112
	v_fmac_f16_e32 v113, 0x3b15, v20
	v_add_f16_e32 v64, v88, v64
	v_fmamk_f16 v88, v14, 0x388b, v84
	v_add_f16_e32 v50, v50, v97
	v_add_f16_e32 v41, v42, v41
	;; [unrolled: 1-line block ×3, first 2 shown]
	v_mul_f16_e32 v62, 0x388b, v13
	v_mul_f16_e32 v69, 0x33a8, v49
	;; [unrolled: 1-line block ×4, first 2 shown]
	v_fmamk_f16 v126, v60, 0xb3a8, v100
	v_fmac_f16_e32 v100, 0x33a8, v60
	v_fmac_f16_e32 v68, 0xbbf1, v60
	v_mul_f16_e32 v54, 0xb94e, v46
	v_mul_f16_e32 v51, 0x3bf1, v48
	;; [unrolled: 1-line block ×3, first 2 shown]
	v_fmamk_f16 v120, v48, 0xb3a8, v66
	v_add_f16_e32 v59, v92, v59
	v_fmamk_f16 v92, v48, 0xb770, v101
	v_add_f16_e32 v65, v124, v65
	v_fmamk_f16 v124, v48, 0x3b7b, v117
	v_fmac_f16_e32 v117, 0xbb7b, v48
	v_fmac_f16_e32 v101, 0x3770, v48
	;; [unrolled: 1-line block ×3, first 2 shown]
	v_mul_f16_e32 v48, 0xb94e, v48
	v_fma_f16 v99, v21, 0xb9fd, -v99
	v_add_f16_e32 v81, v96, v81
	v_add_f16_e32 v76, v121, v76
	v_fmamk_f16 v121, v20, 0x2fb7, v70
	v_add_f16_e32 v79, v86, v79
	v_fmamk_f16 v86, v20, 0xbbc4, v107
	v_fma_f16 v107, v20, 0xbbc4, -v107
	v_fma_f16 v70, v20, 0x2fb7, -v70
	;; [unrolled: 1-line block ×3, first 2 shown]
	v_add_f16_e32 v63, v63, v95
	v_fmamk_f16 v95, v15, 0xb5ac, v116
	v_add_f16_e32 v85, v108, v85
	v_fma_f16 v108, v19, 0x388b, -v122
	v_fma_f16 v84, v14, 0x388b, -v84
	v_add_f16_e32 v80, v102, v80
	v_fmamk_f16 v102, v13, 0xb9fd, v123
	v_fmac_f16_e32 v122, 0x388b, v19
	v_add_f16_e32 v89, v112, v89
	v_add_f16_e32 v91, v113, v91
	v_add_f16_e32 v50, v88, v50
	v_add_f16_e32 v39, v41, v39
	v_add_f16_e32 v32, v33, v32
	v_fmac_f16_e32 v61, 0x388b, v24
	v_fma_f16 v23, v23, 0x3b15, -v57
	v_fmac_f16_e32 v56, 0x3b15, v24
	v_mul_f16_e32 v67, 0xbb7b, v67
	v_add_f16_e32 v72, v125, v72
	v_mul_f16_e32 v125, 0x3770, v45
	v_fmamk_f16 v98, v45, 0xba95, v62
	v_add_f16_e32 v87, v99, v87
	v_fmamk_f16 v99, v45, 0x3b7b, v74
	v_fmamk_f16 v96, v45, 0xbbf1, v118
	v_fmac_f16_e32 v118, 0x3bf1, v45
	v_fmac_f16_e32 v74, 0xbb7b, v45
	;; [unrolled: 1-line block ×3, first 2 shown]
	v_mul_f16_e32 v45, 0xb3a8, v45
	v_add_f16_e32 v65, v126, v65
	v_fmamk_f16 v126, v19, 0xbbc4, v69
	v_fma_f16 v69, v19, 0xbbc4, -v69
	v_add_f16_e32 v81, v100, v81
	v_fma_f16 v100, v19, 0x2fb7, -v90
	v_add_f16_e32 v83, v107, v83
	v_fmamk_f16 v107, v14, 0xb9fd, v48
	v_add_f16_e32 v68, v68, v75
	v_add_f16_e32 v70, v70, v78
	;; [unrolled: 1-line block ×3, first 2 shown]
	v_fma_f16 v103, v18, 0xb9fd, -v54
	v_add_f16_e32 v79, v95, v79
	v_add_f16_e32 v40, v84, v89
	;; [unrolled: 1-line block ×5, first 2 shown]
	v_fma_f16 v32, v13, 0xb9fd, -v123
	v_add_f16_e32 v50, v122, v91
	v_fmac_f16_e32 v54, 0xb9fd, v18
	v_add_f16_e32 v61, v7, v61
	v_fmac_f16_e32 v58, 0xb5ac, v22
	v_add_f16_e32 v9, v9, v23
	v_fma_f16 v17, v17, 0x388b, -v55
	v_add_f16_e32 v7, v7, v56
	v_fmac_f16_e32 v53, 0x388b, v22
	v_mul_f16_e32 v110, 0x3770, v49
	v_mul_f16_e32 v119, 0xbb7b, v49
	;; [unrolled: 1-line block ×3, first 2 shown]
	v_add_f16_e32 v59, v121, v59
	v_fma_f16 v121, v20, 0xb5ac, -v67
	v_fma_f16 v109, v20, 0x388b, -v109
	v_fmamk_f16 v44, v13, 0xbbc4, v45
	v_fma_f16 v104, v16, 0xbbc4, -v104
	v_add_f16_e32 v66, v66, v68
	v_add_f16_e32 v68, v69, v70
	;; [unrolled: 1-line block ×8, first 2 shown]
	v_fmac_f16_e32 v105, 0xbbc4, v21
	v_add_f16_e32 v9, v17, v9
	v_fma_f16 v16, v16, 0x2fb7, -v106
	v_add_f16_e32 v7, v53, v7
	v_fmac_f16_e32 v71, 0x2fb7, v21
	v_mul_f16_e32 v73, 0x3a95, v46
	v_mul_f16_e32 v111, 0xbb7b, v46
	;; [unrolled: 1-line block ×5, first 2 shown]
	v_fma_f16 v75, v19, 0xb9fd, -v49
	v_add_f16_e32 v82, v121, v82
	v_add_f16_e32 v87, v109, v87
	v_fmamk_f16 v109, v14, 0x2fb7, v51
	v_add_f16_e32 v47, v47, v77
	v_add_f16_e32 v38, v44, v76
	;; [unrolled: 1-line block ×4, first 2 shown]
	v_fma_f16 v44, v15, 0xb9fd, -v114
	v_add_f16_e32 v24, v105, v50
	v_fmac_f16_e32 v115, 0xb9fd, v20
	v_add_f16_e32 v9, v16, v9
	v_fma_f16 v15, v15, 0xb5ac, -v116
	v_add_f16_e32 v7, v71, v7
	v_fmac_f16_e32 v67, 0xb5ac, v20
	v_add_f16_e32 v52, v86, v52
	v_fmamk_f16 v86, v19, 0x3b15, v110
	v_fma_f16 v110, v19, 0x3b15, -v110
	v_fma_f16 v43, v18, 0xbbc4, -v46
	v_add_f16_e32 v75, v75, v82
	v_and_b32_e32 v16, 0xffff, v30
	v_add_f16_e32 v72, v127, v72
	v_fmamk_f16 v127, v19, 0xb5ac, v119
	v_fma_f16 v119, v19, 0xb5ac, -v119
	v_fmamk_f16 v95, v13, 0x3b15, v125
	v_fma_f16 v121, v18, 0x3b15, -v94
	v_add_f16_e32 v47, v108, v47
	v_add_f16_e32 v69, v109, v80
	;; [unrolled: 1-line block ×3, first 2 shown]
	v_fma_f16 v44, v14, 0x2fb7, -v51
	v_add_f16_e32 v22, v115, v24
	v_fmac_f16_e32 v90, 0x2fb7, v19
	v_add_f16_e32 v9, v15, v9
	v_fma_f16 v14, v14, 0xb9fd, -v48
	v_add_f16_e32 v7, v67, v7
	v_fmac_f16_e32 v49, 0xb9fd, v19
	v_fmamk_f16 v78, v18, 0x388b, v73
	v_fmamk_f16 v97, v18, 0xb5ac, v111
	v_fma_f16 v111, v18, 0xb5ac, -v111
	v_fma_f16 v73, v18, 0x388b, -v73
	v_add_f16_e32 v81, v101, v81
	v_add_f16_e32 v83, v110, v83
	;; [unrolled: 1-line block ×3, first 2 shown]
	v_mad_u32_u24 v15, 0x138, v16, 0
	v_fmamk_f16 v77, v18, 0x2fb7, v60
	v_fma_f16 v60, v18, 0x2fb7, -v60
	v_add_f16_e32 v63, v120, v63
	v_add_f16_e32 v65, v92, v65
	;; [unrolled: 1-line block ×12, first 2 shown]
	v_fma_f16 v44, v13, 0x3b15, -v125
	v_add_f16_e32 v21, v90, v22
	v_fmac_f16_e32 v94, 0x3b15, v18
	v_add_f16_e32 v9, v14, v9
	v_fma_f16 v13, v13, 0xbbc4, -v45
	v_add_f16_e32 v7, v49, v7
	v_fmac_f16_e32 v46, 0xbbc4, v18
	v_add_f16_e32 v74, v74, v81
	v_add_f16_e32 v35, v111, v83
	;; [unrolled: 1-line block ×4, first 2 shown]
	v_add3_u32 v11, v15, v11, v5
	v_pack_b32_f16 v14, v36, v31
	v_pack_b32_f16 v15, v43, v38
	v_add_f16_e32 v42, v98, v63
	v_add_f16_e32 v63, v99, v65
	;; [unrolled: 1-line block ×6, first 2 shown]
	v_pack_b32_f16 v16, v33, v47
	v_pack_b32_f16 v18, v39, v34
	v_add_f16_e32 v59, v78, v59
	v_add_f16_e32 v52, v97, v52
	;; [unrolled: 1-line block ×6, first 2 shown]
	ds_store_2addr_b32 v11, v14, v15 offset1:6
	ds_store_2addr_b32 v11, v16, v18 offset0:12 offset1:18
	v_pack_b32_f16 v13, v62, v41
	v_pack_b32_f16 v14, v35, v74
	;; [unrolled: 1-line block ×9, first 2 shown]
	ds_store_2addr_b32 v11, v13, v14 offset0:24 offset1:30
	ds_store_2addr_b32 v11, v15, v16 offset0:36 offset1:42
	;; [unrolled: 1-line block ×4, first 2 shown]
	ds_store_b32 v11, v7 offset:288
.LBB0_20:
	s_wait_alu 0xfffe
	s_or_b32 exec_lo, exec_lo, s1
	v_dual_mov_b32 v13, 0 :: v_dual_add_nc_u32 v44, 0x400, v27
	global_wb scope:SCOPE_SE
	s_wait_dscnt 0x0
	s_barrier_signal -1
	s_barrier_wait -1
	v_lshlrev_b64_e32 v[14:15], 2, v[12:13]
	global_inv scope:SCOPE_SE
	v_lshlrev_b32_e32 v7, 2, v4
	v_add3_u32 v30, 0, v1, v5
	v_dual_mov_b32 v1, v13 :: v_dual_add_nc_u32 v46, 0x600, v27
	v_add_co_u32 v14, s0, s4, v14
	s_wait_alu 0xf1ff
	v_add_co_ci_u32_e64 v15, s0, s5, v15, s0
	v_add_nc_u32_e32 v45, 0x800, v27
	v_add3_u32 v47, 0, v7, v5
	v_mov_b32_e32 v11, v13
	global_load_b128 v[31:34], v[14:15], off offset:304
	ds_load_b32 v43, v25
	ds_load_2addr_b32 v[35:36], v44 offset0:134 offset1:212
	ds_load_2addr_b32 v[37:38], v45 offset0:34 offset1:112
	v_mov_b32_e32 v9, v13
	v_mov_b32_e32 v7, v13
	;; [unrolled: 1-line block ×3, first 2 shown]
	v_lshlrev_b64_e32 v[13:14], 2, v[0:1]
	ds_load_b32 v48, v47
	ds_load_b32 v49, v30
	;; [unrolled: 1-line block ×4, first 2 shown]
	ds_load_b32 v52, v27 offset:2808
	v_lshlrev_b64_e32 v[15:16], 2, v[10:11]
	v_lshlrev_b64_e32 v[17:18], 2, v[8:9]
	;; [unrolled: 1-line block ×4, first 2 shown]
	v_add_co_u32 v23, s0, s4, v13
	s_wait_alu 0xf1ff
	v_add_co_ci_u32_e64 v24, s0, s5, v14, s0
	v_add_co_u32 v21, s0, s4, v15
	s_wait_alu 0xf1ff
	v_add_co_ci_u32_e64 v22, s0, s5, v16, s0
	v_add_co_u32 v19, s0, s4, v17
	s_wait_alu 0xf1ff
	v_add_co_ci_u32_e64 v20, s0, s5, v18, s0
	v_add_co_u32 v17, s0, s4, v39
	s_wait_alu 0xf1ff
	v_add_co_ci_u32_e64 v18, s0, s5, v40, s0
	v_add_co_u32 v15, s0, s4, v41
	s_wait_alu 0xf1ff
	v_add_co_ci_u32_e64 v16, s0, s5, v42, s0
	s_wait_dscnt 0x2
	v_lshrrev_b32_e32 v5, 16, v50
	v_lshrrev_b32_e32 v11, 16, v36
	;; [unrolled: 1-line block ×6, first 2 shown]
	s_wait_dscnt 0x0
	v_lshrrev_b32_e32 v41, 16, v52
	v_lshrrev_b32_e32 v54, 16, v49
	;; [unrolled: 1-line block ×4, first 2 shown]
	global_wb scope:SCOPE_SE
	s_wait_loadcnt 0x0
	s_barrier_signal -1
	s_barrier_wait -1
	global_inv scope:SCOPE_SE
	v_cmp_ne_u32_e64 s0, 0, v0
	v_lshrrev_b32_e32 v53, 16, v31
	v_lshrrev_b32_e32 v55, 16, v32
	;; [unrolled: 1-line block ×4, first 2 shown]
	s_delay_alu instid0(VALU_DEP_4)
	v_mul_f16_e32 v58, v53, v5
	v_mul_f16_e32 v59, v53, v50
	;; [unrolled: 1-line block ×16, first 2 shown]
	v_fma_f16 v50, v31, v50, -v58
	v_fmac_f16_e32 v59, v31, v5
	v_fma_f16 v5, v32, v48, -v60
	v_fmac_f16_e32 v61, v32, v42
	;; [unrolled: 2-line block ×8, first 2 shown]
	v_add_f16_e32 v32, v43, v50
	v_add_f16_e32 v33, v5, v36
	;; [unrolled: 1-line block ×4, first 2 shown]
	v_sub_f16_e32 v37, v50, v5
	v_sub_f16_e32 v39, v11, v36
	v_add_f16_e32 v49, v1, v59
	v_add_f16_e32 v62, v59, v65
	v_sub_f16_e32 v34, v59, v65
	v_sub_f16_e32 v42, v5, v50
	;; [unrolled: 1-line block ×6, first 2 shown]
	v_add_f16_e32 v66, v51, v38
	v_add_f16_e32 v67, v31, v7
	;; [unrolled: 1-line block ×6, first 2 shown]
	v_sub_f16_e32 v50, v50, v11
	v_sub_f16_e32 v54, v5, v36
	v_add_f16_e32 v5, v32, v5
	v_fma_f16 v32, -0.5, v33, v43
	v_fmac_f16_e32 v43, -0.5, v41
	v_fma_f16 v41, -0.5, v52, v1
	v_sub_f16_e32 v35, v61, v63
	v_add_f16_e32 v33, v37, v39
	v_add_f16_e32 v39, v49, v61
	v_fmac_f16_e32 v1, -0.5, v62
	v_sub_f16_e32 v68, v53, v57
	v_sub_f16_e32 v69, v55, v56
	;; [unrolled: 1-line block ×8, first 2 shown]
	v_add_f16_e32 v37, v42, v48
	v_add_f16_e32 v48, v59, v64
	;; [unrolled: 1-line block ×3, first 2 shown]
	v_fma_f16 v49, -0.5, v67, v51
	v_fmac_f16_e32 v51, -0.5, v72
	v_add_f16_e32 v55, v75, v55
	v_fma_f16 v59, -0.5, v76, v40
	v_fmac_f16_e32 v40, -0.5, v80
	v_sub_f16_e32 v60, v65, v63
	v_add_f16_e32 v5, v5, v36
	v_fmamk_f16 v36, v34, 0x3b9c, v32
	v_fmamk_f16 v62, v50, 0xbb9c, v41
	;; [unrolled: 1-line block ×3, first 2 shown]
	v_fmac_f16_e32 v43, 0x3b9c, v35
	v_add_f16_e32 v39, v39, v63
	v_fmamk_f16 v63, v54, 0x3b9c, v1
	v_fmac_f16_e32 v1, 0xbb9c, v54
	v_fmac_f16_e32 v32, 0xbb9c, v34
	;; [unrolled: 1-line block ×3, first 2 shown]
	v_sub_f16_e32 v71, v9, v7
	v_sub_f16_e32 v74, v7, v9
	;; [unrolled: 1-line block ×4, first 2 shown]
	v_add_f16_e32 v7, v31, v7
	v_fmamk_f16 v31, v68, 0x3b9c, v49
	v_fmamk_f16 v64, v69, 0xbb9c, v51
	v_add_f16_e32 v55, v55, v56
	v_fmamk_f16 v56, v38, 0xbb9c, v59
	v_fmamk_f16 v66, v77, 0x3b9c, v40
	v_fmac_f16_e32 v49, 0xbb9c, v68
	v_fmac_f16_e32 v51, 0x3b9c, v69
	;; [unrolled: 1-line block ×4, first 2 shown]
	v_add_f16_e32 v42, v58, v60
	v_fmac_f16_e32 v36, 0x38b4, v35
	v_fmac_f16_e32 v62, 0xb8b4, v54
	;; [unrolled: 1-line block ×8, first 2 shown]
	v_add_f16_e32 v52, v70, v71
	v_add_f16_e32 v58, v73, v74
	;; [unrolled: 1-line block ×4, first 2 shown]
	v_fmac_f16_e32 v31, 0x38b4, v69
	v_fmac_f16_e32 v64, 0x38b4, v68
	;; [unrolled: 1-line block ×8, first 2 shown]
	v_add_f16_e32 v5, v5, v11
	v_add_f16_e32 v11, v39, v65
	v_add_f16_e32 v7, v7, v9
	v_add_f16_e32 v9, v55, v57
	v_fmac_f16_e32 v36, 0x34f2, v33
	v_fmac_f16_e32 v62, 0x34f2, v42
	;; [unrolled: 1-line block ×16, first 2 shown]
	v_pack_b32_f16 v5, v5, v11
	v_pack_b32_f16 v7, v7, v9
	;; [unrolled: 1-line block ×10, first 2 shown]
	ds_store_2addr_b32 v27, v5, v9 offset1:78
	ds_store_2addr_b32 v27, v11, v1 offset0:156 offset1:234
	ds_store_2addr_b32 v44, v32, v7 offset0:56 offset1:134
	;; [unrolled: 1-line block ×4, first 2 shown]
	global_wb scope:SCOPE_SE
	s_wait_dscnt 0x0
	s_barrier_signal -1
	s_barrier_wait -1
	global_inv scope:SCOPE_SE
	s_clause 0x4
	global_load_b32 v1, v[23:24], off offset:1552
	global_load_b32 v5, v[15:16], off offset:1552
	;; [unrolled: 1-line block ×5, first 2 shown]
	ds_load_2addr_b32 v[31:32], v44 offset0:134 offset1:212
	ds_load_b32 v35, v28
	ds_load_b32 v36, v27 offset:2808
	ds_load_2addr_b32 v[33:34], v45 offset0:34 offset1:112
	ds_load_b32 v37, v29
	ds_load_b32 v38, v25
	;; [unrolled: 1-line block ×4, first 2 shown]
	global_wb scope:SCOPE_SE
	s_wait_loadcnt_dscnt 0x0
	s_barrier_signal -1
	s_barrier_wait -1
	global_inv scope:SCOPE_SE
	v_pk_mul_f16 v41, v1, v31 op_sel:[0,1]
	v_pk_mul_f16 v42, v5, v36 op_sel:[0,1]
	;; [unrolled: 1-line block ×5, first 2 shown]
	v_pk_fma_f16 v46, v1, v31, v41 op_sel:[0,0,1] op_sel_hi:[1,1,0] neg_lo:[0,0,1] neg_hi:[0,0,1]
	v_pk_fma_f16 v1, v1, v31, v41 op_sel:[0,0,1] op_sel_hi:[1,0,0]
	v_pk_fma_f16 v31, v5, v36, v42 op_sel:[0,0,1] op_sel_hi:[1,1,0] neg_lo:[0,0,1] neg_hi:[0,0,1]
	v_pk_fma_f16 v5, v5, v36, v42 op_sel:[0,0,1] op_sel_hi:[1,0,0]
	;; [unrolled: 2-line block ×5, first 2 shown]
	v_bfi_b32 v1, 0xffff, v46, v1
	v_bfi_b32 v5, 0xffff, v31, v5
	;; [unrolled: 1-line block ×5, first 2 shown]
	v_pk_add_f16 v1, v38, v1 neg_lo:[0,1] neg_hi:[0,1]
	v_pk_add_f16 v5, v40, v5 neg_lo:[0,1] neg_hi:[0,1]
	;; [unrolled: 1-line block ×5, first 2 shown]
	v_pk_fma_f16 v31, v38, 2.0, v1 op_sel_hi:[1,0,1] neg_lo:[0,0,1] neg_hi:[0,0,1]
	v_pk_fma_f16 v32, v40, 2.0, v5 op_sel_hi:[1,0,1] neg_lo:[0,0,1] neg_hi:[0,0,1]
	;; [unrolled: 1-line block ×5, first 2 shown]
	ds_store_b32 v27, v31
	ds_store_b32 v27, v1 offset:1560
	ds_store_b32 v29, v33
	ds_store_b32 v29, v11 offset:1560
	;; [unrolled: 2-line block ×5, first 2 shown]
	global_wb scope:SCOPE_SE
	s_wait_dscnt 0x0
	s_barrier_signal -1
	s_barrier_wait -1
	global_inv scope:SCOPE_SE
	ds_load_b32 v11, v25
	v_sub_nc_u32_e32 v1, v26, v12
                                        ; implicit-def: $vgpr7
                                        ; implicit-def: $vgpr5
                                        ; implicit-def: $vgpr9
	s_and_saveexec_b32 s1, s0
	s_wait_alu 0xfffe
	s_xor_b32 s0, exec_lo, s1
	s_cbranch_execz .LBB0_22
; %bb.21:
	global_load_b32 v5, v[23:24], off offset:3112
	ds_load_b32 v7, v1 offset:3120
	s_wait_dscnt 0x0
	v_pk_add_f16 v9, v11, v7 neg_lo:[0,1] neg_hi:[0,1]
	v_pk_add_f16 v7, v7, v11
	s_delay_alu instid0(VALU_DEP_1) | instskip(SKIP_1) | instid1(VALU_DEP_2)
	v_bfi_b32 v11, 0xffff, v9, v7
	v_bfi_b32 v7, 0xffff, v7, v9
	v_pk_mul_f16 v11, v11, 0.5 op_sel_hi:[1,0]
	s_delay_alu instid0(VALU_DEP_2) | instskip(SKIP_1) | instid1(VALU_DEP_2)
	v_pk_mul_f16 v12, v7, 0.5 op_sel_hi:[1,0]
	s_wait_loadcnt 0x0
	v_pk_mul_f16 v9, v5, v11 op_sel:[1,0]
	v_pk_mul_f16 v11, v5, v11 op_sel_hi:[0,1]
	s_delay_alu instid0(VALU_DEP_2)
	v_pk_fma_f16 v5, v7, 0.5, v9 op_sel_hi:[1,0,1]
	v_lshrrev_b32_e32 v7, 16, v12
	v_lshrrev_b32_e32 v23, 16, v9
	v_sub_f16_e32 v9, v12, v9
	v_lshrrev_b32_e32 v12, 16, v11
	v_pk_add_f16 v24, v5, v11 op_sel:[0,1] op_sel_hi:[1,0]
	v_pk_add_f16 v27, v5, v11 op_sel:[0,1] op_sel_hi:[1,0] neg_lo:[0,1] neg_hi:[0,1]
	v_sub_f16_e32 v23, v23, v7
	s_delay_alu instid0(VALU_DEP_4) | instskip(NEXT) | instid1(VALU_DEP_3)
	v_sub_f16_e32 v5, v9, v12
	v_bfi_b32 v7, 0xffff, v24, v27
	s_delay_alu instid0(VALU_DEP_3)
	v_sub_f16_e32 v9, v23, v11
                                        ; implicit-def: $vgpr11
.LBB0_22:
	s_wait_alu 0xfffe
	s_and_not1_saveexec_b32 s0, s0
	s_cbranch_execz .LBB0_24
; %bb.23:
	ds_load_u16 v7, v26 offset:1562
	s_wait_dscnt 0x1
	s_wait_alu 0xfffe
	v_alignbit_b32 v5, s0, v11, 16
	v_lshrrev_b32_e32 v9, 16, v11
	s_delay_alu instid0(VALU_DEP_2) | instskip(NEXT) | instid1(VALU_DEP_2)
	v_pk_add_f16 v12, v5, v11
	v_sub_f16_e32 v5, v11, v9
	v_mov_b32_e32 v9, 0
	s_wait_dscnt 0x0
	v_xor_b32_e32 v11, 0x8000, v7
	v_pack_b32_f16 v7, v12, 0
	ds_store_b16 v26, v11 offset:1562
.LBB0_24:
	s_wait_alu 0xfffe
	s_or_b32 exec_lo, exec_lo, s0
	s_wait_dscnt 0x0
	s_clause 0x3
	global_load_b32 v11, v[21:22], off offset:3112
	global_load_b32 v12, v[19:20], off offset:3112
	;; [unrolled: 1-line block ×4, first 2 shown]
	v_lshl_add_u32 v10, v10, 2, v26
	ds_store_b16 v1, v9 offset:3122
	ds_store_b32 v25, v7
	ds_store_b16 v1, v5 offset:3120
	v_lshl_add_u32 v8, v8, 2, v26
	v_lshl_add_u32 v6, v6, 2, v26
	ds_load_b32 v5, v10
	ds_load_b32 v7, v1 offset:2808
	v_lshl_add_u32 v4, v4, 2, v26
	s_wait_dscnt 0x0
	v_pk_add_f16 v9, v5, v7 neg_lo:[0,1] neg_hi:[0,1]
	v_pk_add_f16 v5, v5, v7
	s_delay_alu instid0(VALU_DEP_1) | instskip(SKIP_1) | instid1(VALU_DEP_2)
	v_bfi_b32 v7, 0xffff, v9, v5
	v_bfi_b32 v5, 0xffff, v5, v9
	v_pk_mul_f16 v7, v7, 0.5 op_sel_hi:[1,0]
	s_delay_alu instid0(VALU_DEP_2) | instskip(SKIP_1) | instid1(VALU_DEP_1)
	v_pk_mul_f16 v5, v5, 0.5 op_sel_hi:[1,0]
	s_wait_loadcnt 0x3
	v_pk_fma_f16 v9, v11, v7, v5 op_sel:[1,0,0]
	v_pk_mul_f16 v16, v11, v7 op_sel_hi:[0,1]
	v_pk_fma_f16 v18, v11, v7, v5 op_sel:[1,0,0] neg_lo:[1,0,0] neg_hi:[1,0,0]
	v_pk_fma_f16 v5, v11, v7, v5 op_sel:[1,0,0] neg_lo:[0,0,1] neg_hi:[0,0,1]
	s_delay_alu instid0(VALU_DEP_3) | instskip(SKIP_1) | instid1(VALU_DEP_4)
	v_pk_add_f16 v7, v9, v16 op_sel:[0,1] op_sel_hi:[1,0]
	v_pk_add_f16 v9, v9, v16 op_sel:[0,1] op_sel_hi:[1,0] neg_lo:[0,1] neg_hi:[0,1]
	v_pk_add_f16 v11, v18, v16 op_sel:[0,1] op_sel_hi:[1,0] neg_lo:[0,1] neg_hi:[0,1]
	s_delay_alu instid0(VALU_DEP_4) | instskip(NEXT) | instid1(VALU_DEP_3)
	v_pk_add_f16 v5, v5, v16 op_sel:[0,1] op_sel_hi:[1,0] neg_lo:[0,1] neg_hi:[0,1]
	v_bfi_b32 v7, 0xffff, v7, v9
	s_delay_alu instid0(VALU_DEP_2)
	v_bfi_b32 v5, 0xffff, v11, v5
	ds_store_b32 v10, v7
	ds_store_b32 v1, v5 offset:2808
	ds_load_b32 v5, v8
	ds_load_b32 v7, v1 offset:2496
	s_wait_dscnt 0x0
	v_pk_add_f16 v9, v5, v7 neg_lo:[0,1] neg_hi:[0,1]
	v_pk_add_f16 v5, v5, v7
	s_delay_alu instid0(VALU_DEP_1) | instskip(SKIP_1) | instid1(VALU_DEP_2)
	v_bfi_b32 v7, 0xffff, v9, v5
	v_bfi_b32 v5, 0xffff, v5, v9
	v_pk_mul_f16 v7, v7, 0.5 op_sel_hi:[1,0]
	s_delay_alu instid0(VALU_DEP_2) | instskip(SKIP_1) | instid1(VALU_DEP_2)
	v_pk_mul_f16 v5, v5, 0.5 op_sel_hi:[1,0]
	s_wait_loadcnt 0x2
	v_pk_mul_f16 v10, v12, v7 op_sel_hi:[0,1]
	s_delay_alu instid0(VALU_DEP_2) | instskip(SKIP_2) | instid1(VALU_DEP_3)
	v_pk_fma_f16 v9, v12, v7, v5 op_sel:[1,0,0]
	v_pk_fma_f16 v11, v12, v7, v5 op_sel:[1,0,0] neg_lo:[1,0,0] neg_hi:[1,0,0]
	v_pk_fma_f16 v5, v12, v7, v5 op_sel:[1,0,0] neg_lo:[0,0,1] neg_hi:[0,0,1]
	v_pk_add_f16 v7, v9, v10 op_sel:[0,1] op_sel_hi:[1,0]
	v_pk_add_f16 v9, v9, v10 op_sel:[0,1] op_sel_hi:[1,0] neg_lo:[0,1] neg_hi:[0,1]
	s_delay_alu instid0(VALU_DEP_4) | instskip(NEXT) | instid1(VALU_DEP_4)
	v_pk_add_f16 v11, v11, v10 op_sel:[0,1] op_sel_hi:[1,0] neg_lo:[0,1] neg_hi:[0,1]
	v_pk_add_f16 v5, v5, v10 op_sel:[0,1] op_sel_hi:[1,0] neg_lo:[0,1] neg_hi:[0,1]
	s_delay_alu instid0(VALU_DEP_3) | instskip(NEXT) | instid1(VALU_DEP_2)
	v_bfi_b32 v7, 0xffff, v7, v9
	v_bfi_b32 v5, 0xffff, v11, v5
	ds_store_b32 v8, v7
	ds_store_b32 v1, v5 offset:2496
	ds_load_b32 v5, v6
	ds_load_b32 v7, v1 offset:2184
	s_wait_dscnt 0x0
	v_pk_add_f16 v8, v5, v7 neg_lo:[0,1] neg_hi:[0,1]
	v_pk_add_f16 v5, v5, v7
	s_delay_alu instid0(VALU_DEP_1) | instskip(SKIP_1) | instid1(VALU_DEP_2)
	v_bfi_b32 v7, 0xffff, v8, v5
	v_bfi_b32 v5, 0xffff, v5, v8
	v_pk_mul_f16 v7, v7, 0.5 op_sel_hi:[1,0]
	s_delay_alu instid0(VALU_DEP_2) | instskip(SKIP_1) | instid1(VALU_DEP_2)
	v_pk_mul_f16 v5, v5, 0.5 op_sel_hi:[1,0]
	s_wait_loadcnt 0x1
	v_pk_mul_f16 v9, v17, v7 op_sel_hi:[0,1]
	s_delay_alu instid0(VALU_DEP_2) | instskip(SKIP_2) | instid1(VALU_DEP_3)
	v_pk_fma_f16 v8, v17, v7, v5 op_sel:[1,0,0]
	v_pk_fma_f16 v10, v17, v7, v5 op_sel:[1,0,0] neg_lo:[1,0,0] neg_hi:[1,0,0]
	v_pk_fma_f16 v5, v17, v7, v5 op_sel:[1,0,0] neg_lo:[0,0,1] neg_hi:[0,0,1]
	v_pk_add_f16 v7, v8, v9 op_sel:[0,1] op_sel_hi:[1,0]
	v_pk_add_f16 v8, v8, v9 op_sel:[0,1] op_sel_hi:[1,0] neg_lo:[0,1] neg_hi:[0,1]
	s_delay_alu instid0(VALU_DEP_4) | instskip(NEXT) | instid1(VALU_DEP_4)
	v_pk_add_f16 v10, v10, v9 op_sel:[0,1] op_sel_hi:[1,0] neg_lo:[0,1] neg_hi:[0,1]
	v_pk_add_f16 v5, v5, v9 op_sel:[0,1] op_sel_hi:[1,0] neg_lo:[0,1] neg_hi:[0,1]
	s_delay_alu instid0(VALU_DEP_3) | instskip(NEXT) | instid1(VALU_DEP_2)
	v_bfi_b32 v7, 0xffff, v7, v8
	;; [unrolled: 27-line block ×3, first 2 shown]
	v_bfi_b32 v5, 0xffff, v9, v5
	ds_store_b32 v4, v6
	ds_store_b32 v1, v5 offset:1872
	global_wb scope:SCOPE_SE
	s_wait_dscnt 0x0
	s_barrier_signal -1
	s_barrier_wait -1
	global_inv scope:SCOPE_SE
	s_and_saveexec_b32 s0, vcc_lo
	s_cbranch_execz .LBB0_27
; %bb.25:
	v_add_nc_u32_e32 v1, 0x400, v25
	v_add_nc_u32_e32 v10, 0x600, v25
	v_add_nc_u32_e32 v12, 0x800, v25
	ds_load_2addr_b32 v[4:5], v25 offset1:78
	ds_load_2addr_b32 v[6:7], v25 offset0:156 offset1:234
	ds_load_2addr_b32 v[8:9], v1 offset0:56 offset1:134
	;; [unrolled: 1-line block ×4, first 2 shown]
	v_add_co_u32 v1, vcc_lo, s8, v2
	s_wait_alu 0xfffd
	v_add_co_ci_u32_e32 v2, vcc_lo, s9, v3, vcc_lo
	s_delay_alu instid0(VALU_DEP_2) | instskip(SKIP_1) | instid1(VALU_DEP_2)
	v_add_co_u32 v12, vcc_lo, v1, v13
	s_wait_alu 0xfffd
	v_add_co_ci_u32_e32 v13, vcc_lo, v2, v14, vcc_lo
	v_cmp_eq_u32_e32 vcc_lo, 0x4d, v0
	s_wait_dscnt 0x4
	s_clause 0x1
	global_store_b32 v[12:13], v4, off
	global_store_b32 v[12:13], v5, off offset:312
	s_wait_dscnt 0x3
	s_clause 0x1
	global_store_b32 v[12:13], v6, off offset:624
	global_store_b32 v[12:13], v7, off offset:936
	s_wait_dscnt 0x2
	s_clause 0x1
	global_store_b32 v[12:13], v8, off offset:1248
	;; [unrolled: 4-line block ×4, first 2 shown]
	global_store_b32 v[12:13], v16, off offset:2808
	s_and_b32 exec_lo, exec_lo, vcc_lo
	s_cbranch_execz .LBB0_27
; %bb.26:
	ds_load_b32 v0, v25 offset:2812
	s_wait_dscnt 0x0
	global_store_b32 v[1:2], v0, off offset:3120
.LBB0_27:
	s_nop 0
	s_sendmsg sendmsg(MSG_DEALLOC_VGPRS)
	s_endpgm
	.section	.rodata,"a",@progbits
	.p2align	6, 0x0
	.amdhsa_kernel fft_rtc_fwd_len780_factors_2_3_13_5_2_wgs_234_tpt_78_halfLds_half_ip_CI_unitstride_sbrr_R2C_dirReg
		.amdhsa_group_segment_fixed_size 0
		.amdhsa_private_segment_fixed_size 0
		.amdhsa_kernarg_size 88
		.amdhsa_user_sgpr_count 2
		.amdhsa_user_sgpr_dispatch_ptr 0
		.amdhsa_user_sgpr_queue_ptr 0
		.amdhsa_user_sgpr_kernarg_segment_ptr 1
		.amdhsa_user_sgpr_dispatch_id 0
		.amdhsa_user_sgpr_private_segment_size 0
		.amdhsa_wavefront_size32 1
		.amdhsa_uses_dynamic_stack 0
		.amdhsa_enable_private_segment 0
		.amdhsa_system_sgpr_workgroup_id_x 1
		.amdhsa_system_sgpr_workgroup_id_y 0
		.amdhsa_system_sgpr_workgroup_id_z 0
		.amdhsa_system_sgpr_workgroup_info 0
		.amdhsa_system_vgpr_workitem_id 0
		.amdhsa_next_free_vgpr 128
		.amdhsa_next_free_sgpr 32
		.amdhsa_reserve_vcc 1
		.amdhsa_float_round_mode_32 0
		.amdhsa_float_round_mode_16_64 0
		.amdhsa_float_denorm_mode_32 3
		.amdhsa_float_denorm_mode_16_64 3
		.amdhsa_fp16_overflow 0
		.amdhsa_workgroup_processor_mode 1
		.amdhsa_memory_ordered 1
		.amdhsa_forward_progress 0
		.amdhsa_round_robin_scheduling 0
		.amdhsa_exception_fp_ieee_invalid_op 0
		.amdhsa_exception_fp_denorm_src 0
		.amdhsa_exception_fp_ieee_div_zero 0
		.amdhsa_exception_fp_ieee_overflow 0
		.amdhsa_exception_fp_ieee_underflow 0
		.amdhsa_exception_fp_ieee_inexact 0
		.amdhsa_exception_int_div_zero 0
	.end_amdhsa_kernel
	.text
.Lfunc_end0:
	.size	fft_rtc_fwd_len780_factors_2_3_13_5_2_wgs_234_tpt_78_halfLds_half_ip_CI_unitstride_sbrr_R2C_dirReg, .Lfunc_end0-fft_rtc_fwd_len780_factors_2_3_13_5_2_wgs_234_tpt_78_halfLds_half_ip_CI_unitstride_sbrr_R2C_dirReg
                                        ; -- End function
	.section	.AMDGPU.csdata,"",@progbits
; Kernel info:
; codeLenInByte = 10228
; NumSgprs: 34
; NumVgprs: 128
; ScratchSize: 0
; MemoryBound: 0
; FloatMode: 240
; IeeeMode: 1
; LDSByteSize: 0 bytes/workgroup (compile time only)
; SGPRBlocks: 4
; VGPRBlocks: 15
; NumSGPRsForWavesPerEU: 34
; NumVGPRsForWavesPerEU: 128
; Occupancy: 10
; WaveLimiterHint : 1
; COMPUTE_PGM_RSRC2:SCRATCH_EN: 0
; COMPUTE_PGM_RSRC2:USER_SGPR: 2
; COMPUTE_PGM_RSRC2:TRAP_HANDLER: 0
; COMPUTE_PGM_RSRC2:TGID_X_EN: 1
; COMPUTE_PGM_RSRC2:TGID_Y_EN: 0
; COMPUTE_PGM_RSRC2:TGID_Z_EN: 0
; COMPUTE_PGM_RSRC2:TIDIG_COMP_CNT: 0
	.text
	.p2alignl 7, 3214868480
	.fill 96, 4, 3214868480
	.type	__hip_cuid_8a68a109f9dcb8d9,@object ; @__hip_cuid_8a68a109f9dcb8d9
	.section	.bss,"aw",@nobits
	.globl	__hip_cuid_8a68a109f9dcb8d9
__hip_cuid_8a68a109f9dcb8d9:
	.byte	0                               ; 0x0
	.size	__hip_cuid_8a68a109f9dcb8d9, 1

	.ident	"AMD clang version 19.0.0git (https://github.com/RadeonOpenCompute/llvm-project roc-6.4.0 25133 c7fe45cf4b819c5991fe208aaa96edf142730f1d)"
	.section	".note.GNU-stack","",@progbits
	.addrsig
	.addrsig_sym __hip_cuid_8a68a109f9dcb8d9
	.amdgpu_metadata
---
amdhsa.kernels:
  - .args:
      - .actual_access:  read_only
        .address_space:  global
        .offset:         0
        .size:           8
        .value_kind:     global_buffer
      - .offset:         8
        .size:           8
        .value_kind:     by_value
      - .actual_access:  read_only
        .address_space:  global
        .offset:         16
        .size:           8
        .value_kind:     global_buffer
      - .actual_access:  read_only
        .address_space:  global
        .offset:         24
        .size:           8
        .value_kind:     global_buffer
      - .offset:         32
        .size:           8
        .value_kind:     by_value
      - .actual_access:  read_only
        .address_space:  global
        .offset:         40
        .size:           8
        .value_kind:     global_buffer
      - .actual_access:  read_only
        .address_space:  global
        .offset:         48
        .size:           8
        .value_kind:     global_buffer
      - .offset:         56
        .size:           4
        .value_kind:     by_value
      - .actual_access:  read_only
        .address_space:  global
        .offset:         64
        .size:           8
        .value_kind:     global_buffer
      - .actual_access:  read_only
        .address_space:  global
        .offset:         72
        .size:           8
        .value_kind:     global_buffer
      - .address_space:  global
        .offset:         80
        .size:           8
        .value_kind:     global_buffer
    .group_segment_fixed_size: 0
    .kernarg_segment_align: 8
    .kernarg_segment_size: 88
    .language:       OpenCL C
    .language_version:
      - 2
      - 0
    .max_flat_workgroup_size: 234
    .name:           fft_rtc_fwd_len780_factors_2_3_13_5_2_wgs_234_tpt_78_halfLds_half_ip_CI_unitstride_sbrr_R2C_dirReg
    .private_segment_fixed_size: 0
    .sgpr_count:     34
    .sgpr_spill_count: 0
    .symbol:         fft_rtc_fwd_len780_factors_2_3_13_5_2_wgs_234_tpt_78_halfLds_half_ip_CI_unitstride_sbrr_R2C_dirReg.kd
    .uniform_work_group_size: 1
    .uses_dynamic_stack: false
    .vgpr_count:     128
    .vgpr_spill_count: 0
    .wavefront_size: 32
    .workgroup_processor_mode: 1
amdhsa.target:   amdgcn-amd-amdhsa--gfx1201
amdhsa.version:
  - 1
  - 2
...

	.end_amdgpu_metadata
